;; amdgpu-corpus repo=ROCm/rocFFT kind=compiled arch=gfx1030 opt=O3
	.text
	.amdgcn_target "amdgcn-amd-amdhsa--gfx1030"
	.amdhsa_code_object_version 6
	.protected	fft_rtc_back_len17_factors_17_wgs_120_tpt_1_half_op_CI_CI_sbrc_z_xy_unaligned_dirReg ; -- Begin function fft_rtc_back_len17_factors_17_wgs_120_tpt_1_half_op_CI_CI_sbrc_z_xy_unaligned_dirReg
	.globl	fft_rtc_back_len17_factors_17_wgs_120_tpt_1_half_op_CI_CI_sbrc_z_xy_unaligned_dirReg
	.p2align	8
	.type	fft_rtc_back_len17_factors_17_wgs_120_tpt_1_half_op_CI_CI_sbrc_z_xy_unaligned_dirReg,@function
fft_rtc_back_len17_factors_17_wgs_120_tpt_1_half_op_CI_CI_sbrc_z_xy_unaligned_dirReg: ; @fft_rtc_back_len17_factors_17_wgs_120_tpt_1_half_op_CI_CI_sbrc_z_xy_unaligned_dirReg
; %bb.0:
	s_load_dwordx8 s[8:15], s[4:5], 0x8
	s_waitcnt lgkmcnt(0)
	s_load_dwordx4 s[16:19], s[10:11], 0x8
	s_load_dwordx4 s[20:23], s[12:13], 0x0
	s_waitcnt lgkmcnt(0)
	s_add_i32 s0, s16, -1
	s_mul_hi_u32 s0, s0, 0x88888889
	s_lshr_b32 s0, s0, 6
	s_add_i32 s1, s0, 1
	s_mul_i32 s2, s1, s18
	v_cvt_f32_u32_e32 v2, s1
	v_cvt_f32_u32_e32 v1, s2
	s_sub_i32 s7, 0, s2
	v_rcp_iflag_f32_e32 v2, v2
	v_rcp_iflag_f32_e32 v1, v1
	v_mul_f32_e32 v1, 0x4f7ffffe, v1
	v_cvt_u32_f32_e32 v1, v1
	v_readfirstlane_b32 s3, v1
	v_mul_f32_e32 v1, 0x4f7ffffe, v2
	s_mul_i32 s7, s7, s3
	v_cvt_u32_f32_e32 v1, v1
	s_mul_hi_u32 s7, s3, s7
	s_add_i32 s3, s3, s7
	v_readfirstlane_b32 s18, v1
	s_mul_hi_u32 s3, s6, s3
	s_mul_i32 s7, s3, s2
	s_add_i32 s10, s3, 1
	s_sub_i32 s7, s6, s7
	s_sub_i32 s11, s7, s2
	s_cmp_ge_u32 s7, s2
	s_cselect_b32 s3, s10, s3
	s_cselect_b32 s7, s11, s7
	s_add_i32 s10, s3, 1
	s_cmp_ge_u32 s7, s2
	s_load_dword s7, s[12:13], 0x10
	s_cselect_b32 s17, s10, s3
	s_not_b32 s0, s0
	s_mul_i32 s2, s17, s2
	s_mul_i32 s0, s0, s18
	s_sub_i32 s2, s6, s2
	s_mul_hi_u32 s0, s18, s0
	s_add_i32 s18, s18, s0
	s_mul_hi_u32 s0, s2, s18
	s_mul_hi_u32 s11, s6, s18
	s_mul_i32 s3, s0, s1
	s_mul_i32 s11, s11, s1
	s_sub_i32 s2, s2, s3
	s_add_i32 s3, s0, 1
	s_sub_i32 s10, s2, s1
	s_cmp_ge_u32 s2, s1
	s_cselect_b32 s0, s3, s0
	s_cselect_b32 s2, s10, s2
	s_add_i32 s3, s0, 1
	s_cmp_ge_u32 s2, s1
	s_cselect_b32 s18, s3, s0
	s_sub_i32 s0, s6, s11
	s_sub_i32 s2, s0, s1
	s_cmp_ge_u32 s0, s1
	s_cselect_b32 s0, s2, s0
	s_sub_i32 s2, s0, s1
	s_cmp_ge_u32 s0, s1
	s_cselect_b32 s19, s2, s0
	s_waitcnt lgkmcnt(0)
	s_mul_i32 s2, s18, s7
	s_mulk_i32 s19, 0x78
	s_lshl_b64 s[0:1], s[8:9], 3
	s_mul_i32 s3, s19, s22
	s_add_i32 s8, s3, s2
	s_add_u32 s2, s12, s0
	s_addc_u32 s3, s13, s1
	s_load_dwordx2 s[2:3], s[2:3], 0x0
	s_load_dwordx2 s[10:11], s[4:5], 0x58
	;; [unrolled: 1-line block ×3, first 2 shown]
	s_waitcnt lgkmcnt(0)
	s_mul_i32 s3, s3, s17
	s_mul_hi_u32 s7, s2, s17
	s_mul_i32 s2, s2, s17
	s_add_i32 s7, s7, s3
	s_add_u32 s12, s2, s8
	s_addc_u32 s13, s7, 0
	s_add_u32 s8, s14, s0
	s_addc_u32 s9, s15, s1
	s_clause 0x1
	s_load_dwordx4 s[0:3], s[14:15], 0x0
	s_load_dwordx2 s[8:9], s[8:9], 0x0
	s_waitcnt lgkmcnt(0)
	s_add_i32 s3, s19, 0x78
	s_mov_b32 s14, -1
	s_cmp_le_u32 s3, s16
	s_mov_b32 s7, 0
	s_cselect_b32 s3, -1, 0
	s_and_b32 vcc_lo, exec_lo, s3
	s_cbranch_vccnz .LBB0_4
; %bb.1:
	s_lshl_b64 s[14:15], s[12:13], 2
	v_mov_b32_e32 v2, 0
	v_mov_b32_e32 v3, 0xf0f1
	;; [unrolled: 1-line block ×3, first 2 shown]
	s_add_u32 s14, s10, s14
	s_addc_u32 s15, s11, s15
	s_inst_prefetch 0x1
	.p2align	6
.LBB0_2:                                ; =>This Inner Loop Header: Depth=1
	v_mul_u32_u24_sdwa v1, v4, v3 dst_sel:DWORD dst_unused:UNUSED_PAD src0_sel:WORD_0 src1_sel:DWORD
	v_lshrrev_b32_e32 v9, 20, v1
	v_mul_lo_u16 v1, v9, 17
	v_sub_nc_u16 v10, v4, v1
	v_add_nc_u32_e32 v4, 0x78, v4
	v_and_b32_e32 v7, 0xffff, v10
	v_mad_u64_u32 v[5:6], null, s20, v7, 0
	v_mov_b32_e32 v1, v6
	v_mad_u64_u32 v[6:7], null, s21, v7, v[1:2]
	v_mul_lo_u32 v1, s22, v9
	v_lshlrev_b64 v[5:6], 2, v[5:6]
	v_lshlrev_b64 v[7:8], 2, v[1:2]
	v_add_co_u32 v1, vcc_lo, s14, v5
	v_add_co_ci_u32_e32 v6, vcc_lo, s15, v6, vcc_lo
	v_add_co_u32 v5, vcc_lo, v1, v7
	v_add_co_ci_u32_e32 v6, vcc_lo, v6, v8, vcc_lo
	v_cmp_lt_u32_e32 vcc_lo, 0x7f7, v4
	global_load_dword v1, v[5:6], off
	v_mad_u16 v5, 0x78, v10, v9
	s_or_b32 s7, vcc_lo, s7
	v_and_b32_e32 v5, 0xffff, v5
	v_lshl_add_u32 v5, v5, 2, 0
	s_waitcnt vmcnt(0)
	ds_write_b32 v5, v1
	s_andn2_b32 exec_lo, exec_lo, s7
	s_cbranch_execnz .LBB0_2
; %bb.3:
	s_inst_prefetch 0x2
	s_or_b32 exec_lo, exec_lo, s7
	s_mov_b32 s14, 0
.LBB0_4:
	s_and_b32 vcc_lo, exec_lo, s14
	s_cbranch_vccz .LBB0_6
; %bb.5:
	v_mov_b32_e32 v9, 0xf10
	v_add_nc_u16 v1, v0, 0x78
	v_add_nc_u16 v14, v0, 0xf0
	;; [unrolled: 1-line block ×3, first 2 shown]
	v_mov_b32_e32 v2, 0
	v_mul_u32_u24_sdwa v3, v0, v9 dst_sel:DWORD dst_unused:UNUSED_PAD src0_sel:WORD_0 src1_sel:DWORD
	v_mul_u32_u24_sdwa v4, v1, v9 dst_sel:DWORD dst_unused:UNUSED_PAD src0_sel:WORD_0 src1_sel:DWORD
	s_lshl_b64 s[12:13], s[12:13], 2
	v_mul_u32_u24_sdwa v6, v15, v9 dst_sel:DWORD dst_unused:UNUSED_PAD src0_sel:WORD_0 src1_sel:DWORD
	v_add_nc_u16 v27, v0, 0x1e0
	v_lshrrev_b32_e32 v7, 16, v3
	v_lshrrev_b32_e32 v8, 16, v4
	v_mul_u32_u24_sdwa v4, v14, v9 dst_sel:DWORD dst_unused:UNUSED_PAD src0_sel:WORD_0 src1_sel:DWORD
	v_lshrrev_b32_e32 v11, 16, v6
	s_add_u32 s7, s10, s12
	v_mul_lo_u16 v3, v7, 17
	v_mul_lo_u16 v5, v8, 17
	v_lshrrev_b32_e32 v10, 16, v4
	v_mul_lo_u16 v18, v11, 17
	s_addc_u32 s10, s11, s13
	v_sub_nc_u16 v12, v0, v3
	v_sub_nc_u16 v13, v1, v5
	v_mul_lo_u32 v1, s22, v7
	v_mul_lo_u16 v17, v10, 17
	v_sub_nc_u16 v15, v15, v18
	v_and_b32_e32 v16, 0xffff, v12
	v_and_b32_e32 v22, 0xffff, v13
	v_mul_u32_u24_sdwa v24, v27, v9 dst_sel:DWORD dst_unused:UNUSED_PAD src0_sel:WORD_0 src1_sel:DWORD
	v_sub_nc_u16 v14, v14, v17
	v_and_b32_e32 v28, 0xffff, v15
	v_mad_u64_u32 v[3:4], null, s20, v16, 0
	v_mad_u64_u32 v[5:6], null, s20, v22, 0
	v_lshlrev_b64 v[17:18], 2, v[1:2]
	v_and_b32_e32 v25, 0xffff, v14
	v_add_nc_u16 v29, v0, 0x258
	v_add_nc_u16 v32, v0, 0x2d0
	;; [unrolled: 1-line block ×4, first 2 shown]
	v_mov_b32_e32 v1, v6
	v_mad_u64_u32 v[19:20], null, s21, v16, v[4:5]
	v_mad_u64_u32 v[20:21], null, s20, v25, 0
	v_mad_u64_u32 v[22:23], null, s21, v22, v[1:2]
	v_mul_lo_u32 v1, s22, v8
	v_lshrrev_b32_e32 v16, 16, v24
	v_mov_b32_e32 v4, v19
	v_mad_u64_u32 v[23:24], null, s20, v28, 0
	v_mov_b32_e32 v19, v21
	v_mov_b32_e32 v6, v22
	v_lshlrev_b64 v[3:4], 2, v[3:4]
	v_lshlrev_b64 v[21:22], 2, v[1:2]
	v_mul_u32_u24_sdwa v36, v34, v9 dst_sel:DWORD dst_unused:UNUSED_PAD src0_sel:WORD_0 src1_sel:DWORD
	v_mad_u64_u32 v[25:26], null, s21, v25, v[19:20]
	v_lshlrev_b64 v[5:6], 2, v[5:6]
	v_add_co_u32 v1, vcc_lo, s7, v3
	v_add_co_ci_u32_e32 v4, vcc_lo, s10, v4, vcc_lo
	v_lshrrev_b32_e32 v51, 16, v36
	v_add_co_u32 v5, vcc_lo, s7, v5
	v_add_co_ci_u32_e32 v6, vcc_lo, s10, v6, vcc_lo
	v_add_co_u32 v3, vcc_lo, v1, v17
	v_add_co_ci_u32_e32 v4, vcc_lo, v4, v18, vcc_lo
	v_add_co_u32 v5, vcc_lo, v5, v21
	v_mov_b32_e32 v21, v25
	v_add_co_ci_u32_e32 v6, vcc_lo, v6, v22, vcc_lo
	v_mov_b32_e32 v17, v24
	v_mul_lo_u16 v22, v16, 17
	v_lshlrev_b64 v[18:19], 2, v[20:21]
	v_mul_lo_u32 v1, s22, v10
	v_mul_u32_u24_sdwa v24, v29, v9 dst_sel:DWORD dst_unused:UNUSED_PAD src0_sel:WORD_0 src1_sel:DWORD
	v_add_nc_u16 v36, v0, 0x3c0
	v_add_nc_u16 v48, v0, 0x618
	;; [unrolled: 1-line block ×3, first 2 shown]
	v_mad_u64_u32 v[20:21], null, s21, v28, v[17:18]
	v_sub_nc_u16 v17, v27, v22
	v_add_co_u32 v27, vcc_lo, s7, v18
	v_lshrrev_b32_e32 v18, 16, v24
	v_lshlrev_b64 v[21:22], 2, v[1:2]
	v_and_b32_e32 v30, 0xffff, v17
	v_add_co_ci_u32_e32 v19, vcc_lo, s10, v19, vcc_lo
	v_mov_b32_e32 v24, v20
	v_mul_lo_u32 v1, s22, v11
	v_mad_u64_u32 v[25:26], null, s20, v30, 0
	v_mul_lo_u16 v20, v18, 17
	v_add_co_u32 v21, vcc_lo, v27, v21
	v_add_co_ci_u32_e32 v22, vcc_lo, v19, v22, vcc_lo
	v_sub_nc_u16 v19, v29, v20
	v_mov_b32_e32 v20, v26
	v_lshlrev_b64 v[27:28], 2, v[1:2]
	v_mul_u32_u24_sdwa v1, v32, v9 dst_sel:DWORD dst_unused:UNUSED_PAD src0_sel:WORD_0 src1_sel:DWORD
	v_lshlrev_b64 v[23:24], 2, v[23:24]
	v_and_b32_e32 v33, 0xffff, v19
	v_mad_u64_u32 v[29:30], null, s21, v30, v[20:21]
	v_lshrrev_b32_e32 v20, 16, v1
	v_or_b32_e32 v70, 0x780, v0
	v_mad_u64_u32 v[30:31], null, s20, v33, 0
	v_add_co_u32 v1, vcc_lo, s7, v23
	v_mov_b32_e32 v26, v29
	v_mul_lo_u16 v29, v20, 17
	v_add_co_ci_u32_e32 v24, vcc_lo, s10, v24, vcc_lo
	v_add_co_u32 v23, vcc_lo, v1, v27
	v_sub_nc_u16 v50, v32, v29
	v_mov_b32_e32 v27, v31
	v_mul_lo_u32 v1, s22, v16
	v_lshlrev_b64 v[25:26], 2, v[25:26]
	v_add_co_ci_u32_e32 v24, vcc_lo, v24, v28, vcc_lo
	v_and_b32_e32 v32, 0xffff, v50
	v_mad_u64_u32 v[27:28], null, s21, v33, v[27:28]
	v_add_co_u32 v33, vcc_lo, s7, v25
	v_mad_u64_u32 v[28:29], null, s20, v32, 0
	v_add_co_ci_u32_e32 v35, vcc_lo, s10, v26, vcc_lo
	v_lshlrev_b64 v[25:26], 2, v[1:2]
	v_mov_b32_e32 v31, v27
	v_mul_lo_u32 v1, s22, v18
	v_mov_b32_e32 v27, v29
	v_add_co_u32 v25, vcc_lo, v33, v25
	v_lshlrev_b64 v[29:30], 2, v[30:31]
	v_add_co_ci_u32_e32 v26, vcc_lo, v35, v26, vcc_lo
	v_mul_lo_u16 v35, v51, 17
	v_mad_u64_u32 v[31:32], null, s21, v32, v[27:28]
	v_lshlrev_b64 v[32:33], 2, v[1:2]
	v_mul_u32_u24_sdwa v1, v36, v9 dst_sel:DWORD dst_unused:UNUSED_PAD src0_sel:WORD_0 src1_sel:DWORD
	v_sub_nc_u16 v52, v34, v35
	v_add_co_u32 v27, vcc_lo, s7, v29
	v_add_co_ci_u32_e32 v34, vcc_lo, s10, v30, vcc_lo
	v_lshrrev_b32_e32 v53, 16, v1
	v_mov_b32_e32 v29, v31
	v_and_b32_e32 v35, 0xffff, v52
	v_add_co_u32 v30, vcc_lo, v27, v32
	v_add_co_ci_u32_e32 v31, vcc_lo, v34, v33, vcc_lo
	v_mul_lo_u16 v34, v53, 17
	v_lshlrev_b64 v[27:28], 2, v[28:29]
	v_mul_lo_u32 v1, s22, v20
	v_mad_u64_u32 v[32:33], null, s20, v35, 0
	v_sub_nc_u16 v54, v36, v34
	v_add_nc_u16 v36, v0, 0x438
	v_add_co_u32 v37, vcc_lo, s7, v27
	v_add_co_ci_u32_e32 v38, vcc_lo, s10, v28, vcc_lo
	v_lshlrev_b64 v[28:29], 2, v[1:2]
	v_mul_u32_u24_sdwa v1, v36, v9 dst_sel:DWORD dst_unused:UNUSED_PAD src0_sel:WORD_0 src1_sel:DWORD
	v_mov_b32_e32 v27, v33
	v_and_b32_e32 v39, 0xffff, v54
	v_lshrrev_b32_e32 v55, 16, v1
	v_mad_u64_u32 v[33:34], null, s21, v35, v[27:28]
	v_mad_u64_u32 v[34:35], null, s20, v39, 0
	v_add_co_u32 v27, vcc_lo, v37, v28
	v_mul_lo_u16 v37, v55, 17
	v_add_co_ci_u32_e32 v28, vcc_lo, v38, v29, vcc_lo
	v_add_nc_u16 v38, v0, 0x4b0
	v_mov_b32_e32 v29, v35
	v_sub_nc_u16 v56, v36, v37
	v_mul_lo_u32 v1, s22, v51
	v_lshlrev_b64 v[32:33], 2, v[32:33]
	v_mul_u32_u24_sdwa v37, v38, v9 dst_sel:DWORD dst_unused:UNUSED_PAD src0_sel:WORD_0 src1_sel:DWORD
	v_mad_u64_u32 v[35:36], null, s21, v39, v[29:30]
	v_and_b32_e32 v39, 0xffff, v56
	v_lshrrev_b32_e32 v57, 16, v37
	v_add_co_u32 v29, vcc_lo, s7, v32
	v_mad_u64_u32 v[36:37], null, s20, v39, 0
	v_add_co_ci_u32_e32 v40, vcc_lo, s10, v33, vcc_lo
	v_lshlrev_b64 v[32:33], 2, v[1:2]
	v_mul_lo_u16 v41, v57, 17
	v_mul_lo_u32 v1, s22, v53
	v_lshlrev_b64 v[34:35], 2, v[34:35]
	v_add_co_u32 v32, vcc_lo, v29, v32
	v_mov_b32_e32 v29, v37
	v_sub_nc_u16 v58, v38, v41
	v_add_co_ci_u32_e32 v33, vcc_lo, v40, v33, vcc_lo
	v_lshlrev_b64 v[40:41], 2, v[1:2]
	v_mad_u64_u32 v[37:38], null, s21, v39, v[29:30]
	v_mul_u32_u24_sdwa v29, v43, v9 dst_sel:DWORD dst_unused:UNUSED_PAD src0_sel:WORD_0 src1_sel:DWORD
	v_and_b32_e32 v42, 0xffff, v58
	v_add_co_u32 v34, vcc_lo, s7, v34
	v_add_co_ci_u32_e32 v35, vcc_lo, s10, v35, vcc_lo
	v_lshrrev_b32_e32 v59, 16, v29
	v_add_nc_u16 v29, v0, 0x5a0
	v_mad_u64_u32 v[38:39], null, s20, v42, 0
	v_add_co_u32 v34, vcc_lo, v34, v40
	v_mul_u32_u24_sdwa v44, v29, v9 dst_sel:DWORD dst_unused:UNUSED_PAD src0_sel:WORD_0 src1_sel:DWORD
	v_add_co_ci_u32_e32 v35, vcc_lo, v35, v41, vcc_lo
	v_mul_lo_u16 v41, v59, 17
	v_mov_b32_e32 v1, v39
	v_lshrrev_b32_e32 v61, 16, v44
	v_lshlrev_b64 v[36:37], 2, v[36:37]
	v_sub_nc_u16 v60, v43, v41
	v_mad_u64_u32 v[39:40], null, s21, v42, v[1:2]
	v_mul_lo_u16 v44, v61, 17
	v_mul_lo_u32 v1, s22, v55
	v_and_b32_e32 v46, 0xffff, v60
	v_add_co_u32 v42, vcc_lo, s7, v36
	v_sub_nc_u16 v62, v29, v44
	v_add_co_ci_u32_e32 v43, vcc_lo, s10, v37, vcc_lo
	v_mad_u64_u32 v[40:41], null, s20, v46, 0
	v_lshlrev_b64 v[36:37], 2, v[1:2]
	v_mul_lo_u32 v1, s22, v57
	v_and_b32_e32 v49, 0xffff, v62
	v_mul_u32_u24_sdwa v29, v48, v9 dst_sel:DWORD dst_unused:UNUSED_PAD src0_sel:WORD_0 src1_sel:DWORD
	v_lshlrev_b64 v[38:39], 2, v[38:39]
	v_add_co_u32 v36, vcc_lo, v42, v36
	v_mad_u64_u32 v[44:45], null, s20, v49, 0
	v_add_co_ci_u32_e32 v37, vcc_lo, v43, v37, vcc_lo
	v_lshlrev_b64 v[42:43], 2, v[1:2]
	v_mov_b32_e32 v1, v41
	v_lshrrev_b32_e32 v63, 16, v29
	v_mov_b32_e32 v29, v45
	v_mad_u64_u32 v[46:47], null, s21, v46, v[1:2]
	v_mul_lo_u16 v45, v63, 17
	v_add_co_u32 v47, vcc_lo, s7, v38
	v_add_co_ci_u32_e32 v64, vcc_lo, s10, v39, vcc_lo
	v_mad_u64_u32 v[38:39], null, s21, v49, v[29:30]
	v_sub_nc_u16 v65, v48, v45
	v_mov_b32_e32 v41, v46
	v_add_co_u32 v42, vcc_lo, v47, v42
	v_mul_u32_u24_sdwa v29, v66, v9 dst_sel:DWORD dst_unused:UNUSED_PAD src0_sel:WORD_0 src1_sel:DWORD
	v_add_co_ci_u32_e32 v43, vcc_lo, v64, v43, vcc_lo
	v_and_b32_e32 v64, 0xffff, v65
	v_lshlrev_b64 v[39:40], 2, v[40:41]
	v_mov_b32_e32 v45, v38
	v_lshrrev_b32_e32 v67, 16, v29
	v_mul_lo_u32 v1, s22, v59
	v_mad_u64_u32 v[48:49], null, s20, v64, 0
	v_add_co_u32 v41, vcc_lo, s7, v39
	v_lshlrev_b64 v[38:39], 2, v[44:45]
	v_mul_lo_u16 v44, v67, 17
	v_add_co_ci_u32_e32 v68, vcc_lo, s10, v40, vcc_lo
	v_lshlrev_b64 v[46:47], 2, v[1:2]
	v_mov_b32_e32 v29, v49
	v_sub_nc_u16 v66, v66, v44
	v_mul_lo_u32 v1, s22, v61
	v_add_co_u32 v40, vcc_lo, v41, v46
	v_mad_u64_u32 v[44:45], null, s21, v64, v[29:30]
	v_and_b32_e32 v64, 0xffff, v66
	v_add_co_ci_u32_e32 v41, vcc_lo, v68, v47, vcc_lo
	v_add_nc_u16 v68, v0, 0x708
	v_add_co_u32 v29, vcc_lo, s7, v38
	v_add_co_ci_u32_e32 v47, vcc_lo, s10, v39, vcc_lo
	v_mad_u64_u32 v[38:39], null, s20, v64, 0
	v_lshlrev_b64 v[45:46], 2, v[1:2]
	v_mul_u32_u24_sdwa v1, v68, v9 dst_sel:DWORD dst_unused:UNUSED_PAD src0_sel:WORD_0 src1_sel:DWORD
	v_mov_b32_e32 v49, v44
	v_mul_u32_u24_sdwa v9, v70, v9 dst_sel:DWORD dst_unused:UNUSED_PAD src0_sel:WORD_0 src1_sel:DWORD
	v_lshrrev_b32_e32 v69, 16, v1
	v_add_co_u32 v44, vcc_lo, v29, v45
	v_mov_b32_e32 v29, v39
	v_add_co_ci_u32_e32 v45, vcc_lo, v47, v46, vcc_lo
	v_lshlrev_b64 v[46:47], 2, v[48:49]
	v_mul_lo_u32 v1, s22, v63
	v_mul_lo_u16 v39, v69, 17
	v_mad_u64_u32 v[48:49], null, s21, v64, v[29:30]
	v_lshrrev_b32_e32 v64, 16, v9
	v_add_co_u32 v9, vcc_lo, s7, v46
	v_sub_nc_u16 v29, v68, v39
	v_add_co_ci_u32_e32 v68, vcc_lo, s10, v47, vcc_lo
	v_mul_lo_u16 v72, v64, 17
	v_lshlrev_b64 v[46:47], 2, v[1:2]
	v_and_b32_e32 v71, 0xffff, v29
	v_mov_b32_e32 v39, v48
	v_mul_lo_u32 v1, s22, v67
	v_sub_nc_u16 v70, v70, v72
	s_clause 0x1
	global_load_dword v72, v[3:4], off
	global_load_dword v73, v[5:6], off
	v_add_co_u32 v3, vcc_lo, v9, v46
	v_mad_u64_u32 v[48:49], null, s20, v71, 0
	v_add_co_ci_u32_e32 v4, vcc_lo, v68, v47, vcc_lo
	v_and_b32_e32 v68, 0xffff, v70
	v_lshlrev_b64 v[5:6], 2, v[38:39]
	v_mov_b32_e32 v9, v49
	v_mad_u64_u32 v[38:39], null, s20, v68, 0
	v_add_co_u32 v74, vcc_lo, s7, v5
	v_mad_u64_u32 v[46:47], null, s21, v71, v[9:10]
	s_clause 0x4
	global_load_dword v47, v[21:22], off
	global_load_dword v71, v[23:24], off
	;; [unrolled: 1-line block ×5, first 2 shown]
	v_add_co_ci_u32_e32 v75, vcc_lo, s10, v6, vcc_lo
	v_mov_b32_e32 v9, v39
	v_lshlrev_b64 v[5:6], 2, v[1:2]
	v_mul_lo_u32 v1, s22, v69
	v_mov_b32_e32 v49, v46
	v_mad_u64_u32 v[21:22], null, s21, v68, v[9:10]
	v_add_co_u32 v5, vcc_lo, v74, v5
	v_lshlrev_b64 v[22:23], 2, v[48:49]
	v_lshlrev_b64 v[24:25], 2, v[1:2]
	v_mul_lo_u32 v1, s22, v64
	global_load_dword v9, v[32:33], off
	v_mov_b32_e32 v39, v21
	s_clause 0x3
	global_load_dword v31, v[34:35], off
	global_load_dword v32, v[36:37], off
	;; [unrolled: 1-line block ×4, first 2 shown]
	v_add_co_ci_u32_e32 v6, vcc_lo, v75, v6, vcc_lo
	v_add_co_u32 v21, vcc_lo, s7, v22
	v_lshlrev_b64 v[26:27], 2, v[38:39]
	v_add_co_ci_u32_e32 v22, vcc_lo, s10, v23, vcc_lo
	v_lshlrev_b64 v[1:2], 2, v[1:2]
	v_add_co_u32 v23, vcc_lo, s7, v26
	v_add_co_ci_u32_e32 v26, vcc_lo, s10, v27, vcc_lo
	v_add_co_u32 v21, vcc_lo, v21, v24
	v_add_co_ci_u32_e32 v22, vcc_lo, v22, v25, vcc_lo
	;; [unrolled: 2-line block ×3, first 2 shown]
	s_clause 0x4
	global_load_dword v23, v[44:45], off
	global_load_dword v3, v[3:4], off
	;; [unrolled: 1-line block ×5, first 2 shown]
	v_mul_lo_u16 v2, 0x78, v12
	v_mad_u16 v6, 0x78, v13, v8
	v_mad_u16 v8, 0x78, v19, v18
	v_or_b32_e32 v2, v2, v7
	v_and_b32_e32 v6, 0xffff, v6
	v_mad_u16 v7, 0x78, v17, v16
	v_and_b32_e32 v8, 0xffff, v8
	v_and_b32_e32 v2, 0xffff, v2
	v_lshl_add_u32 v6, v6, 2, 0
	v_and_b32_e32 v7, 0xffff, v7
	v_lshl_add_u32 v8, v8, 2, 0
	v_lshl_add_u32 v2, v2, 2, 0
	s_waitcnt vmcnt(16)
	ds_write_b32 v2, v72
	s_waitcnt vmcnt(15)
	ds_write_b32 v6, v73
	v_mad_u16 v2, 0x78, v14, v10
	v_mad_u16 v6, 0x78, v15, v11
	;; [unrolled: 1-line block ×3, first 2 shown]
	v_lshl_add_u32 v7, v7, 2, 0
	v_and_b32_e32 v2, 0xffff, v2
	v_and_b32_e32 v6, 0xffff, v6
	;; [unrolled: 1-line block ×3, first 2 shown]
	v_lshl_add_u32 v2, v2, 2, 0
	v_lshl_add_u32 v6, v6, 2, 0
	v_lshl_add_u32 v10, v10, 2, 0
	s_waitcnt vmcnt(14)
	ds_write_b32 v2, v47
	s_waitcnt vmcnt(13)
	ds_write_b32 v6, v71
	;; [unrolled: 2-line block ×5, first 2 shown]
	v_mad_u16 v2, 0x78, v52, v51
	v_mad_u16 v6, 0x78, v54, v53
	;; [unrolled: 1-line block ×5, first 2 shown]
	v_and_b32_e32 v2, 0xffff, v2
	v_and_b32_e32 v6, 0xffff, v6
	;; [unrolled: 1-line block ×5, first 2 shown]
	v_lshl_add_u32 v2, v2, 2, 0
	v_lshl_add_u32 v6, v6, 2, 0
	;; [unrolled: 1-line block ×5, first 2 shown]
	s_waitcnt vmcnt(9)
	ds_write_b32 v2, v9
	s_waitcnt vmcnt(8)
	ds_write_b32 v6, v31
	;; [unrolled: 2-line block ×5, first 2 shown]
	v_mad_u16 v2, 0x78, v62, v61
	v_mad_u16 v6, 0x78, v65, v63
	;; [unrolled: 1-line block ×5, first 2 shown]
	v_and_b32_e32 v2, 0xffff, v2
	v_and_b32_e32 v6, 0xffff, v6
	;; [unrolled: 1-line block ×5, first 2 shown]
	v_lshl_add_u32 v2, v2, 2, 0
	v_lshl_add_u32 v6, v6, 2, 0
	;; [unrolled: 1-line block ×5, first 2 shown]
	s_waitcnt vmcnt(4)
	ds_write_b32 v2, v23
	s_waitcnt vmcnt(3)
	ds_write_b32 v6, v3
	;; [unrolled: 2-line block ×5, first 2 shown]
.LBB0_6:
	v_mov_b32_e32 v1, 0x223
	s_waitcnt lgkmcnt(0)
	s_barrier
	buffer_gl0_inv
	v_mul_u32_u24_sdwa v1, v0, v1 dst_sel:DWORD dst_unused:UNUSED_PAD src0_sel:WORD_0 src1_sel:DWORD
	v_lshrrev_b32_e32 v1, 16, v1
	v_mul_lo_u16 v1, 0x78, v1
	v_sub_nc_u16 v1, v0, v1
	v_and_b32_e32 v16, 0xffff, v1
	v_add_nc_u32_e32 v1, s19, v16
	v_cmp_gt_u32_e32 vcc_lo, s16, v1
	s_or_b32 s3, s3, vcc_lo
	s_and_saveexec_b32 s7, s3
	s_cbranch_execz .LBB0_8
; %bb.7:
	v_mul_hi_u32 v17, 0x2222223, v0
	v_lshlrev_b32_e32 v0, 2, v16
	s_load_dwordx2 s[4:5], s[4:5], 0x60
	s_mul_i32 s7, s1, s19
	s_mul_hi_u32 s10, s0, s19
	s_mul_i32 s2, s18, s2
	s_add_i32 s11, s10, s7
	s_mul_i32 s10, s0, s19
	v_mul_u32_u24_e32 v1, 0x1e0, v17
	s_mul_i32 s7, s9, s17
	s_mul_hi_u32 s9, s8, s17
	s_mov_b32 s3, 0
	s_add_i32 s9, s9, s7
	v_add3_u32 v0, 0, v1, v0
	s_mul_i32 s8, s8, s17
	ds_read2_b32 v[4:5], v0 offset1:120
	ds_read_b32 v18, v0 offset:7680
	v_add_nc_u32_e32 v1, 0xe00, v0
	v_add_nc_u32_e32 v2, 0xa00, v0
	;; [unrolled: 1-line block ×5, first 2 shown]
	ds_read2_b32 v[8:9], v1 offset0:64 offset1:184
	ds_read2_b32 v[10:11], v2 offset0:80 offset1:200
	;; [unrolled: 1-line block ×3, first 2 shown]
	v_add_nc_u32_e32 v1, 0x200, v0
	v_add_nc_u32_e32 v0, 0x1a00, v0
	ds_read2_b32 v[12:13], v12 offset0:96 offset1:216
	ds_read2_b32 v[2:3], v14 offset0:32 offset1:152
	;; [unrolled: 1-line block ×4, first 2 shown]
	s_waitcnt lgkmcnt(0)
	v_sub_f16_e32 v44, v5, v18
	v_add_f16_sdwa v23, v18, v5 dst_sel:DWORD dst_unused:UNUSED_PAD src0_sel:WORD_1 src1_sel:WORD_1
	v_sub_f16_sdwa v48, v5, v18 dst_sel:DWORD dst_unused:UNUSED_PAD src0_sel:WORD_1 src1_sel:WORD_1
	v_add_f16_e32 v24, v18, v5
	v_sub_f16_e32 v37, v8, v9
	v_mul_f16_e32 v19, 0xb1e1, v44
	v_sub_f16_e32 v42, v10, v7
	v_mul_f16_e32 v55, 0xb1e1, v48
	v_sub_f16_e32 v47, v12, v3
	v_add_f16_sdwa v33, v3, v12 dst_sel:DWORD dst_unused:UNUSED_PAD src0_sel:WORD_1 src1_sel:WORD_1
	v_sub_f16_e32 v53, v14, v1
	v_sub_f16_e32 v50, v15, v0
	v_add_f16_sdwa v35, v1, v14 dst_sel:DWORD dst_unused:UNUSED_PAD src0_sel:WORD_1 src1_sel:WORD_1
	v_fmamk_f16 v36, v23, 0xbbdd, v19
	v_add_f16_sdwa v34, v0, v15 dst_sel:DWORD dst_unused:UNUSED_PAD src0_sel:WORD_1 src1_sel:WORD_1
	v_mul_f16_e32 v20, 0x35c8, v53
	v_mul_f16_e32 v39, 0xb836, v50
	v_sub_f16_sdwa v52, v14, v1 dst_sel:DWORD dst_unused:UNUSED_PAD src0_sel:WORD_1 src1_sel:WORD_1
	v_add_f16_sdwa v36, v36, v4 dst_sel:DWORD dst_unused:UNUSED_PAD src0_sel:DWORD src1_sel:WORD_1
	v_sub_f16_sdwa v51, v15, v0 dst_sel:DWORD dst_unused:UNUSED_PAD src0_sel:WORD_1 src1_sel:WORD_1
	v_fmamk_f16 v40, v35, 0x3b76, v20
	v_fmamk_f16 v45, v34, 0xbacd, v39
	v_add_f16_e32 v28, v1, v14
	v_mul_f16_e32 v56, 0x3964, v47
	v_mul_f16_e32 v59, 0x35c8, v52
	v_add_f16_e32 v36, v40, v36
	v_sub_f16_sdwa v49, v12, v3 dst_sel:DWORD dst_unused:UNUSED_PAD src0_sel:WORD_1 src1_sel:WORD_1
	v_add_f16_e32 v27, v0, v15
	v_fmamk_f16 v54, v33, 0x39e9, v56
	v_mul_f16_e32 v62, 0xb836, v51
	v_add_f16_e32 v36, v45, v36
	v_fma_f16 v45, v24, 0xbbdd, -v55
	v_fma_f16 v63, v28, 0x3b76, -v59
	v_sub_f16_e32 v43, v13, v2
	v_sub_f16_sdwa v46, v13, v2 dst_sel:DWORD dst_unused:UNUSED_PAD src0_sel:WORD_1 src1_sel:WORD_1
	v_add_f16_e32 v25, v3, v12
	v_add_f16_e32 v45, v45, v4
	v_mul_f16_e32 v61, 0x3964, v49
	v_add_f16_e32 v65, v54, v36
	v_fma_f16 v54, v27, 0xbacd, -v62
	v_add_f16_sdwa v26, v2, v13 dst_sel:DWORD dst_unused:UNUSED_PAD src0_sel:WORD_1 src1_sel:WORD_1
	v_add_f16_e32 v45, v63, v45
	v_mul_f16_e32 v58, 0xba62, v43
	v_add_f16_e32 v36, v2, v13
	v_fma_f16 v19, v23, 0xbbdd, -v19
	v_mul_f16_e32 v63, 0xba62, v46
	v_fma_f16 v67, v25, 0x39e9, -v61
	v_add_f16_e32 v68, v54, v45
	v_sub_f16_sdwa v54, v10, v7 dst_sel:DWORD dst_unused:UNUSED_PAD src0_sel:WORD_1 src1_sel:WORD_1
	v_sub_f16_e32 v38, v11, v6
	v_add_f16_sdwa v31, v7, v10 dst_sel:DWORD dst_unused:UNUSED_PAD src0_sel:WORD_1 src1_sel:WORD_1
	v_sub_f16_sdwa v41, v11, v6 dst_sel:DWORD dst_unused:UNUSED_PAD src0_sel:WORD_1 src1_sel:WORD_1
	v_mul_f16_e32 v60, 0x3b29, v42
	v_fmamk_f16 v64, v26, 0xb8d2, v58
	v_fma_f16 v20, v35, 0x3b76, -v20
	v_add_f16_sdwa v19, v19, v4 dst_sel:DWORD dst_unused:UNUSED_PAD src0_sel:DWORD src1_sel:WORD_1
	v_add_f16_e32 v45, v7, v10
	v_add_f16_e32 v67, v67, v68
	v_fma_f16 v68, v36, 0xb8d2, -v63
	v_mul_f16_e32 v69, 0x3b29, v54
	v_add_f16_sdwa v32, v6, v11 dst_sel:DWORD dst_unused:UNUSED_PAD src0_sel:WORD_1 src1_sel:WORD_1
	v_sub_f16_sdwa v29, v8, v9 dst_sel:DWORD dst_unused:UNUSED_PAD src0_sel:WORD_1 src1_sel:WORD_1
	v_add_f16_e32 v22, v6, v11
	v_mul_f16_e32 v57, 0xbbb2, v38
	v_fmamk_f16 v66, v31, 0x3722, v60
	v_add_f16_e32 v19, v20, v19
	v_fma_f16 v20, v34, 0xbacd, -v39
	v_add_f16_e32 v39, v64, v65
	v_add_f16_e32 v65, v68, v67
	v_fma_f16 v67, v45, 0x3722, -v69
	v_mul_f16_e32 v68, 0xbbb2, v41
	v_add_f16_sdwa v30, v9, v8 dst_sel:DWORD dst_unused:UNUSED_PAD src0_sel:WORD_1 src1_sel:WORD_1
	v_add_f16_e32 v21, v9, v8
	v_mul_f16_e32 v40, 0x3bf7, v37
	v_fmamk_f16 v64, v32, 0xb461, v57
	v_add_f16_e32 v19, v20, v19
	v_fma_f16 v20, v33, 0x39e9, -v56
	v_add_f16_e32 v39, v66, v39
	v_mul_f16_e32 v56, 0x3bf7, v29
	v_add_f16_e32 v65, v67, v65
	v_fma_f16 v66, v22, 0xb461, -v68
	v_add_f16_e32 v19, v20, v19
	v_fmamk_f16 v20, v30, 0x2de8, v40
	v_fma_f16 v58, v26, 0xb8d2, -v58
	v_add_f16_e32 v39, v64, v39
	v_fma_f16 v64, v21, 0x2de8, -v56
	v_add_f16_e32 v65, v66, v65
	v_mul_f16_e32 v66, 0xb836, v44
	v_fmac_f16_e32 v55, 0xbbdd, v24
	v_add_f16_e32 v58, v58, v19
	v_add_f16_e32 v19, v20, v39
	;; [unrolled: 1-line block ×3, first 2 shown]
	v_mul_f16_e32 v64, 0x3b29, v53
	v_fmamk_f16 v39, v23, 0xbacd, v66
	v_fmac_f16_e32 v59, 0x3b76, v28
	v_add_f16_e32 v55, v55, v4
	v_fma_f16 v60, v31, 0x3722, -v60
	v_mul_f16_e32 v65, 0xbbf7, v50
	v_fmamk_f16 v67, v35, 0x3722, v64
	v_add_f16_sdwa v39, v39, v4 dst_sel:DWORD dst_unused:UNUSED_PAD src0_sel:DWORD src1_sel:WORD_1
	v_fmac_f16_e32 v62, 0xbacd, v27
	v_add_f16_e32 v55, v59, v55
	v_add_f16_e32 v58, v60, v58
	v_fmamk_f16 v59, v34, 0x2de8, v65
	v_add_f16_e32 v39, v67, v39
	v_mul_f16_e32 v60, 0x3a62, v47
	v_fmac_f16_e32 v61, 0x39e9, v25
	v_add_f16_e32 v55, v62, v55
	v_mul_f16_e32 v62, 0xb5c8, v43
	v_add_f16_e32 v39, v59, v39
	v_fmamk_f16 v59, v33, 0xb8d2, v60
	v_fmac_f16_e32 v63, 0xb8d2, v36
	v_add_f16_e32 v55, v61, v55
	v_fmamk_f16 v61, v26, 0x3b76, v62
	v_fmac_f16_e32 v69, 0x3722, v45
	v_add_f16_e32 v39, v59, v39
	v_mul_f16_e32 v59, 0xb1e1, v42
	v_add_f16_e32 v55, v63, v55
	v_mul_f16_e32 v63, 0x3964, v38
	v_fma_f16 v57, v32, 0xb461, -v57
	v_add_f16_e32 v39, v61, v39
	v_fmamk_f16 v61, v31, 0xbbdd, v59
	v_fmac_f16_e32 v68, 0xb461, v22
	v_add_f16_e32 v55, v69, v55
	v_fma_f16 v40, v30, 0x2de8, -v40
	v_fmamk_f16 v67, v32, 0x39e9, v63
	v_mul_f16_e32 v69, 0xb836, v48
	v_add_f16_e32 v39, v61, v39
	v_add_f16_e32 v57, v57, v58
	v_fmac_f16_e32 v56, 0x2de8, v21
	v_add_f16_e32 v55, v68, v55
	v_mul_f16_e32 v58, 0x3b29, v52
	v_fma_f16 v61, v24, 0xbacd, -v69
	v_add_f16_e32 v67, v67, v39
	v_add_f16_e32 v39, v40, v57
	;; [unrolled: 1-line block ×3, first 2 shown]
	v_fma_f16 v56, v23, 0xbacd, -v66
	v_fmac_f16_e32 v69, 0xbacd, v24
	v_mul_f16_e32 v68, 0xbbf7, v51
	v_fma_f16 v70, v28, 0x3722, -v58
	v_add_f16_e32 v61, v61, v4
	v_fma_f16 v64, v35, 0x3722, -v64
	v_add_f16_sdwa v56, v56, v4 dst_sel:DWORD dst_unused:UNUSED_PAD src0_sel:DWORD src1_sel:WORD_1
	v_fmac_f16_e32 v58, 0x3722, v28
	v_add_f16_e32 v66, v69, v4
	v_fma_f16 v55, v27, 0x2de8, -v68
	v_add_f16_e32 v57, v70, v61
	v_add_f16_e32 v56, v64, v56
	v_fma_f16 v64, v34, 0x2de8, -v65
	v_mul_f16_e32 v65, 0x3a62, v49
	v_fmac_f16_e32 v68, 0x2de8, v27
	v_add_f16_e32 v58, v58, v66
	v_add_f16_e32 v55, v55, v57
	;; [unrolled: 1-line block ×3, first 2 shown]
	v_fma_f16 v64, v25, 0xb8d2, -v65
	v_fma_f16 v60, v33, 0xb8d2, -v60
	v_add_f16_e32 v58, v68, v58
	v_mul_f16_e32 v68, 0xb5c8, v46
	v_fmac_f16_e32 v65, 0xb8d2, v25
	v_add_f16_e32 v55, v64, v55
	v_add_f16_e32 v56, v60, v56
	v_fma_f16 v62, v26, 0x3b76, -v62
	v_fma_f16 v60, v36, 0x3b76, -v68
	v_add_f16_e32 v58, v65, v58
	v_mul_f16_e32 v65, 0xb1e1, v54
	v_fmac_f16_e32 v68, 0x3b76, v36
	v_add_f16_e32 v56, v62, v56
	v_add_f16_e32 v55, v60, v55
	v_fma_f16 v59, v31, 0xbbdd, -v59
	v_fma_f16 v62, v45, 0xbbdd, -v65
	v_mul_f16_e32 v61, 0xbbb2, v37
	v_mul_f16_e32 v60, 0x3964, v41
	v_add_f16_e32 v58, v68, v58
	v_fmac_f16_e32 v65, 0xbbdd, v45
	v_add_f16_e32 v55, v62, v55
	v_fma_f16 v62, v32, 0x39e9, -v63
	v_add_f16_e32 v56, v59, v56
	v_fmamk_f16 v57, v30, 0xb461, v61
	v_mul_f16_e32 v66, 0xbbb2, v29
	v_fma_f16 v68, v22, 0x39e9, -v60
	v_fmac_f16_e32 v60, 0x39e9, v22
	v_add_f16_e32 v58, v65, v58
	v_fma_f16 v61, v30, 0xb461, -v61
	v_add_f16_e32 v62, v62, v56
	v_fma_f16 v64, v21, 0xb461, -v66
	v_add_f16_e32 v59, v68, v55
	v_add_f16_e32 v58, v60, v58
	;; [unrolled: 1-line block ×4, first 2 shown]
	v_mul_f16_e32 v60, 0xba62, v44
	v_add_f16_sdwa v61, v5, v4 dst_sel:DWORD dst_unused:UNUSED_PAD src0_sel:WORD_1 src1_sel:WORD_1
	v_add_f16_e32 v5, v5, v4
	v_fmac_f16_e32 v66, 0xb461, v21
	v_add_f16_e32 v56, v64, v59
	v_mul_f16_e32 v59, 0x3bb2, v53
	v_fmamk_f16 v62, v23, 0xb8d2, v60
	v_mul_f16_e32 v64, 0xba62, v48
	v_add_f16_sdwa v61, v61, v14 dst_sel:DWORD dst_unused:UNUSED_PAD src0_sel:DWORD src1_sel:WORD_1
	v_add_f16_e32 v5, v5, v14
	v_add_f16_e32 v58, v66, v58
	v_mul_f16_e32 v63, 0xb5c8, v50
	v_fmamk_f16 v14, v35, 0xb461, v59
	v_add_f16_sdwa v62, v62, v4 dst_sel:DWORD dst_unused:UNUSED_PAD src0_sel:DWORD src1_sel:WORD_1
	v_add_f16_sdwa v61, v61, v15 dst_sel:DWORD dst_unused:UNUSED_PAD src0_sel:DWORD src1_sel:WORD_1
	v_add_f16_e32 v5, v5, v15
	v_mul_f16_e32 v15, 0x3bb2, v52
	v_fma_f16 v66, v24, 0xb8d2, -v64
	v_mul_f16_e32 v65, 0xb836, v47
	v_fmamk_f16 v67, v34, 0x3b76, v63
	v_add_f16_e32 v14, v14, v62
	v_fma_f16 v62, v28, 0xb461, -v15
	v_add_f16_e32 v66, v66, v4
	v_mul_f16_e32 v68, 0xb5c8, v51
	v_add_f16_sdwa v61, v61, v12 dst_sel:DWORD dst_unused:UNUSED_PAD src0_sel:DWORD src1_sel:WORD_1
	v_add_f16_e32 v5, v5, v12
	v_add_f16_e32 v12, v67, v14
	v_fmamk_f16 v14, v33, 0xbacd, v65
	v_add_f16_e32 v62, v62, v66
	v_fma_f16 v66, v27, 0x3b76, -v68
	v_mul_f16_e32 v67, 0xb836, v49
	v_mul_f16_e32 v69, 0x3bf7, v43
	v_add_f16_e32 v12, v14, v12
	v_fma_f16 v60, v23, 0xb8d2, -v60
	v_add_f16_e32 v14, v66, v62
	v_fma_f16 v62, v25, 0xbacd, -v67
	v_mul_f16_e32 v70, 0x3bf7, v46
	v_fmamk_f16 v66, v26, 0x2de8, v69
	v_fma_f16 v59, v35, 0xb461, -v59
	v_add_f16_sdwa v60, v60, v4 dst_sel:DWORD dst_unused:UNUSED_PAD src0_sel:DWORD src1_sel:WORD_1
	v_add_f16_e32 v14, v62, v14
	v_mul_f16_e32 v62, 0xb964, v42
	v_fma_f16 v71, v36, 0x2de8, -v70
	v_add_f16_e32 v12, v66, v12
	v_add_f16_e32 v59, v59, v60
	v_mul_f16_e32 v60, 0xb964, v54
	v_fmamk_f16 v66, v31, 0x39e9, v62
	v_add_f16_e32 v14, v71, v14
	v_fma_f16 v63, v34, 0x3b76, -v63
	v_mul_f16_e32 v71, 0xb1e1, v38
	v_fma_f16 v72, v45, 0x39e9, -v60
	v_add_f16_e32 v12, v66, v12
	v_mul_f16_e32 v66, 0xb1e1, v41
	v_add_f16_e32 v59, v63, v59
	v_fmamk_f16 v63, v32, 0xbbdd, v71
	v_fma_f16 v65, v33, 0xbacd, -v65
	v_mul_f16_e32 v73, 0x3b29, v37
	v_fmac_f16_e32 v64, 0xb8d2, v24
	v_add_f16_sdwa v61, v61, v13 dst_sel:DWORD dst_unused:UNUSED_PAD src0_sel:DWORD src1_sel:WORD_1
	v_add_f16_e32 v14, v72, v14
	v_fma_f16 v72, v22, 0xbbdd, -v66
	v_add_f16_e32 v13, v5, v13
	v_add_f16_e32 v5, v63, v12
	;; [unrolled: 1-line block ×3, first 2 shown]
	v_fma_f16 v59, v26, 0x2de8, -v69
	v_fmamk_f16 v63, v30, 0x3722, v73
	v_mul_f16_e32 v65, 0x3b29, v29
	v_fmac_f16_e32 v15, 0xb461, v28
	v_add_f16_e32 v64, v64, v4
	v_mul_f16_e32 v69, 0xbbb2, v44
	v_add_f16_e32 v14, v72, v14
	v_add_f16_e32 v59, v59, v12
	;; [unrolled: 1-line block ×3, first 2 shown]
	v_fma_f16 v12, v21, 0x3722, -v65
	v_add_f16_e32 v15, v15, v64
	v_fmac_f16_e32 v68, 0x3b76, v27
	v_mul_f16_e32 v64, 0x3836, v53
	v_fmamk_f16 v63, v23, 0xb461, v69
	v_add_f16_e32 v12, v12, v14
	v_fma_f16 v14, v31, 0x39e9, -v62
	v_add_f16_e32 v15, v68, v15
	v_fmamk_f16 v62, v35, 0xbacd, v64
	v_add_f16_sdwa v63, v63, v4 dst_sel:DWORD dst_unused:UNUSED_PAD src0_sel:DWORD src1_sel:WORD_1
	v_fmac_f16_e32 v67, 0xbacd, v25
	v_mul_f16_e32 v68, 0x3964, v50
	v_add_f16_e32 v14, v14, v59
	v_fma_f16 v59, v32, 0xbbdd, -v71
	v_add_f16_e32 v62, v62, v63
	v_add_f16_e32 v15, v67, v15
	v_fmamk_f16 v63, v34, 0x39e9, v68
	v_fmac_f16_e32 v70, 0x2de8, v36
	v_mul_f16_e32 v67, 0xbb29, v47
	v_add_f16_e32 v14, v59, v14
	v_add_f16_sdwa v59, v61, v10 dst_sel:DWORD dst_unused:UNUSED_PAD src0_sel:DWORD src1_sel:WORD_1
	v_add_f16_e32 v62, v63, v62
	v_add_f16_e32 v15, v70, v15
	v_fmamk_f16 v63, v33, 0x3722, v67
	v_fmac_f16_e32 v60, 0x39e9, v45
	v_mul_f16_e32 v70, 0xb1e1, v43
	v_add_f16_e32 v10, v13, v10
	v_add_f16_sdwa v61, v59, v11 dst_sel:DWORD dst_unused:UNUSED_PAD src0_sel:DWORD src1_sel:WORD_1
	v_add_f16_e32 v13, v63, v62
	v_add_f16_e32 v15, v60, v15
	v_fmamk_f16 v59, v26, 0xbbdd, v70
	v_mul_f16_e32 v60, 0x3bf7, v42
	v_fmac_f16_e32 v66, 0xbbdd, v22
	v_mul_f16_e32 v62, 0xbbb2, v48
	v_add_f16_e32 v63, v10, v11
	v_add_f16_e32 v10, v59, v13
	v_fmamk_f16 v11, v31, 0x2de8, v60
	v_add_f16_e32 v15, v66, v15
	v_fma_f16 v13, v24, 0xb461, -v62
	v_mul_f16_e32 v59, 0x3836, v52
	v_fma_f16 v66, v30, 0x3722, -v73
	v_fmac_f16_e32 v65, 0x3722, v21
	v_add_f16_e32 v10, v11, v10
	v_add_f16_e32 v11, v13, v4
	v_fma_f16 v72, v28, 0xbacd, -v59
	v_mul_f16_e32 v73, 0x3964, v51
	v_add_f16_e32 v13, v66, v14
	v_add_f16_e32 v14, v65, v15
	v_fma_f16 v65, v23, 0xb461, -v69
	v_mul_f16_e32 v71, 0xb5c8, v38
	v_add_f16_e32 v11, v72, v11
	v_fma_f16 v72, v27, 0x39e9, -v73
	v_mul_f16_e32 v74, 0xbb29, v49
	v_fma_f16 v64, v35, 0xbacd, -v64
	v_add_f16_sdwa v65, v65, v4 dst_sel:DWORD dst_unused:UNUSED_PAD src0_sel:DWORD src1_sel:WORD_1
	v_fmamk_f16 v66, v32, 0x3b76, v71
	v_add_f16_e32 v11, v72, v11
	v_fma_f16 v69, v25, 0x3722, -v74
	v_mul_f16_e32 v72, 0xb1e1, v46
	v_add_f16_e32 v64, v64, v65
	v_fma_f16 v65, v34, 0x39e9, -v68
	v_add_f16_e32 v10, v66, v10
	v_add_f16_e32 v11, v69, v11
	v_fma_f16 v66, v36, 0xbbdd, -v72
	v_mul_f16_e32 v69, 0x3bf7, v54
	v_add_f16_e32 v64, v65, v64
	v_fma_f16 v65, v33, 0x3722, -v67
	v_mul_f16_e32 v75, 0xb5c8, v41
	v_add_f16_e32 v11, v66, v11
	v_fma_f16 v66, v45, 0x2de8, -v69
	v_fmac_f16_e32 v62, 0xb461, v24
	v_add_f16_e32 v64, v65, v64
	v_fma_f16 v65, v26, 0xbbdd, -v70
	v_mul_f16_e32 v15, 0xba62, v37
	v_add_f16_e32 v11, v66, v11
	v_fma_f16 v66, v22, 0x3b76, -v75
	v_mul_f16_e32 v67, 0xba62, v29
	v_fmac_f16_e32 v59, 0xbacd, v28
	v_add_f16_e32 v62, v62, v4
	v_add_f16_e32 v64, v65, v64
	v_fma_f16 v60, v31, 0x2de8, -v60
	v_mul_f16_e32 v65, 0xbbf7, v44
	v_fmamk_f16 v68, v30, 0xb8d2, v15
	v_add_f16_e32 v11, v66, v11
	v_fma_f16 v66, v21, 0xb8d2, -v67
	v_add_f16_e32 v59, v59, v62
	v_fmac_f16_e32 v73, 0x39e9, v27
	v_add_f16_e32 v60, v60, v64
	v_fmamk_f16 v62, v23, 0x2de8, v65
	v_mul_f16_e32 v64, 0xb1e1, v53
	v_add_f16_e32 v10, v68, v10
	v_add_f16_e32 v11, v66, v11
	v_fma_f16 v66, v32, 0x3b76, -v71
	v_add_f16_e32 v59, v73, v59
	v_fmac_f16_e32 v74, 0x3722, v25
	v_add_f16_sdwa v62, v62, v4 dst_sel:DWORD dst_unused:UNUSED_PAD src0_sel:DWORD src1_sel:WORD_1
	v_fmamk_f16 v68, v35, 0xbbdd, v64
	v_mul_f16_e32 v70, 0x3bb2, v50
	v_add_f16_e32 v60, v66, v60
	v_add_f16_e32 v59, v74, v59
	v_fmac_f16_e32 v72, 0xbbdd, v36
	v_add_f16_e32 v62, v68, v62
	v_fmamk_f16 v66, v34, 0xb461, v70
	v_mul_f16_e32 v68, 0x35c8, v47
	v_fma_f16 v15, v30, 0xb8d2, -v15
	v_add_f16_e32 v71, v72, v59
	v_fmac_f16_e32 v69, 0x2de8, v45
	v_add_f16_e32 v62, v66, v62
	v_fmamk_f16 v66, v33, 0x3b76, v68
	v_mul_f16_e32 v72, 0xbb29, v43
	v_add_f16_e32 v59, v15, v60
	v_mul_f16_e32 v60, 0xbbf7, v48
	v_add_f16_e32 v15, v69, v71
	v_add_f16_e32 v62, v66, v62
	v_fmamk_f16 v66, v26, 0x3722, v72
	v_mul_f16_e32 v69, 0xb836, v42
	v_fma_f16 v71, v24, 0x2de8, -v60
	v_mul_f16_e32 v73, 0xb1e1, v52
	v_fmac_f16_e32 v75, 0x3b76, v22
	v_add_f16_e32 v62, v66, v62
	v_fmamk_f16 v66, v31, 0xbacd, v69
	v_add_f16_e32 v71, v71, v4
	v_fma_f16 v74, v28, 0xbbdd, -v73
	v_mul_f16_e32 v76, 0x3bb2, v51
	v_add_f16_e32 v15, v75, v15
	v_mul_f16_e32 v75, 0x3a62, v38
	v_add_f16_e32 v62, v66, v62
	v_add_f16_e32 v66, v74, v71
	v_fma_f16 v71, v27, 0xb461, -v76
	v_mul_f16_e32 v74, 0x35c8, v49
	v_fmamk_f16 v77, v32, 0xb8d2, v75
	v_fmac_f16_e32 v67, 0xb8d2, v21
	v_mul_f16_e32 v79, 0xbb29, v46
	v_add_f16_e32 v66, v71, v66
	v_fma_f16 v71, v25, 0x3b76, -v74
	v_add_f16_e32 v77, v77, v62
	v_add_f16_e32 v62, v67, v15
	v_fma_f16 v65, v23, 0x2de8, -v65
	v_fma_f16 v67, v36, 0x3722, -v79
	v_add_f16_e32 v66, v71, v66
	v_fma_f16 v64, v35, 0xbbdd, -v64
	v_fmac_f16_e32 v60, 0x2de8, v24
	v_add_f16_sdwa v65, v65, v4 dst_sel:DWORD dst_unused:UNUSED_PAD src0_sel:DWORD src1_sel:WORD_1
	v_mul_f16_e32 v71, 0x3a62, v41
	v_add_f16_e32 v66, v67, v66
	v_mul_f16_e32 v67, 0xb836, v54
	v_fmac_f16_e32 v73, 0xbbdd, v28
	v_add_f16_e32 v64, v64, v65
	v_fma_f16 v65, v34, 0xb461, -v70
	v_add_f16_e32 v60, v60, v4
	v_fma_f16 v70, v45, 0xbacd, -v67
	v_fmac_f16_e32 v76, 0xb461, v27
	v_fmac_f16_e32 v74, 0x3b76, v25
	v_add_f16_e32 v64, v65, v64
	v_fma_f16 v65, v33, 0x3b76, -v68
	v_add_f16_e32 v66, v70, v66
	v_fma_f16 v68, v22, 0xb8d2, -v71
	v_add_f16_e32 v60, v73, v60
	v_mul_f16_e32 v70, 0xba62, v53
	v_add_f16_e32 v64, v65, v64
	v_fma_f16 v65, v26, 0x3722, -v72
	v_add_f16_e32 v66, v68, v66
	v_mul_f16_e32 v68, 0xbb29, v44
	v_add_f16_e32 v60, v76, v60
	v_fmac_f16_e32 v79, 0x3722, v36
	v_add_f16_e32 v64, v65, v64
	v_fma_f16 v65, v31, 0xbacd, -v69
	v_fmamk_f16 v69, v23, 0x3722, v68
	v_add_f16_e32 v60, v74, v60
	v_mul_f16_e32 v72, 0x3964, v29
	v_fmamk_f16 v73, v35, 0xb8d2, v70
	v_mul_f16_e32 v74, 0x31e1, v50
	v_add_f16_sdwa v69, v69, v4 dst_sel:DWORD dst_unused:UNUSED_PAD src0_sel:DWORD src1_sel:WORD_1
	v_add_f16_e32 v60, v79, v60
	v_fmac_f16_e32 v67, 0xbacd, v45
	v_add_f16_e32 v64, v65, v64
	v_fma_f16 v65, v21, 0x39e9, -v72
	v_add_f16_e32 v69, v73, v69
	v_fmamk_f16 v73, v34, 0xbbdd, v74
	v_mul_f16_e32 v76, 0x3bb2, v47
	v_mul_f16_e32 v78, 0x3964, v37
	v_add_f16_e32 v67, v67, v60
	v_add_f16_e32 v60, v65, v66
	v_fma_f16 v65, v32, 0xb8d2, -v75
	v_fmac_f16_e32 v71, 0xb8d2, v22
	v_add_f16_e32 v66, v73, v69
	v_fmamk_f16 v69, v33, 0xb461, v76
	v_mul_f16_e32 v73, 0x3964, v43
	v_fmamk_f16 v80, v30, 0x39e9, v78
	v_add_f16_e32 v64, v65, v64
	v_add_f16_e32 v65, v71, v67
	v_mul_f16_e32 v67, 0xbb29, v48
	v_add_f16_e32 v66, v69, v66
	v_fmamk_f16 v69, v26, 0x39e9, v73
	v_mul_f16_e32 v71, 0xb5c8, v42
	v_add_f16_e32 v15, v80, v77
	v_fma_f16 v75, v30, 0x39e9, -v78
	v_fma_f16 v77, v24, 0x3722, -v67
	v_mul_f16_e32 v78, 0xba62, v52
	v_add_f16_e32 v66, v69, v66
	v_fmamk_f16 v69, v31, 0x3b76, v71
	v_mul_f16_e32 v79, 0xbbf7, v38
	v_add_f16_e32 v77, v77, v4
	v_fma_f16 v80, v28, 0xb8d2, -v78
	v_mul_f16_e32 v81, 0x31e1, v51
	v_add_f16_e32 v66, v69, v66
	v_fmamk_f16 v69, v32, 0x2de8, v79
	v_fmac_f16_e32 v72, 0x39e9, v21
	v_add_f16_e32 v77, v80, v77
	v_fma_f16 v80, v27, 0xbbdd, -v81
	v_add_f16_e32 v75, v75, v64
	v_mul_f16_e32 v82, 0x3bb2, v49
	v_add_f16_e32 v64, v69, v66
	v_fma_f16 v66, v23, 0x3722, -v68
	v_add_f16_e32 v72, v72, v65
	v_add_f16_e32 v65, v80, v77
	v_fma_f16 v68, v25, 0xb461, -v82
	v_mul_f16_e32 v69, 0x3964, v46
	v_fma_f16 v70, v35, 0xb8d2, -v70
	v_add_f16_sdwa v66, v66, v4 dst_sel:DWORD dst_unused:UNUSED_PAD src0_sel:DWORD src1_sel:WORD_1
	v_mul_f16_e32 v80, 0xb5c8, v54
	v_add_f16_e32 v65, v68, v65
	v_fma_f16 v68, v36, 0x39e9, -v69
	v_fmac_f16_e32 v67, 0x3722, v24
	v_add_f16_e32 v66, v70, v66
	v_fma_f16 v70, v34, 0xbbdd, -v74
	v_mul_f16_e32 v74, 0xbbf7, v41
	v_add_f16_e32 v65, v68, v65
	v_fma_f16 v68, v45, 0x3b76, -v80
	v_fmac_f16_e32 v78, 0xb8d2, v28
	v_add_f16_e32 v66, v70, v66
	v_fma_f16 v70, v33, 0xb461, -v76
	v_mul_f16_e32 v76, 0xb836, v29
	v_add_f16_e32 v65, v68, v65
	v_fma_f16 v68, v22, 0x2de8, -v74
	v_add_f16_e32 v67, v67, v4
	v_add_f16_e32 v66, v70, v66
	v_fma_f16 v70, v26, 0x39e9, -v73
	v_fma_f16 v71, v31, 0x3b76, -v71
	v_add_f16_e32 v65, v68, v65
	v_fma_f16 v68, v21, 0xbacd, -v76
	v_add_f16_e32 v67, v78, v67
	v_add_f16_e32 v66, v70, v66
	v_mul_f16_e32 v70, 0xb964, v44
	v_fmac_f16_e32 v81, 0xbbdd, v27
	v_add_f16_e32 v65, v68, v65
	v_mul_f16_e32 v73, 0xbbf7, v53
	v_add_f16_e32 v66, v71, v66
	v_fmamk_f16 v68, v23, 0x39e9, v70
	v_add_f16_e32 v67, v81, v67
	v_fmac_f16_e32 v82, 0xb461, v25
	v_fmamk_f16 v71, v35, 0x2de8, v73
	v_mul_f16_e32 v78, 0xba62, v50
	v_add_f16_sdwa v68, v68, v4 dst_sel:DWORD dst_unused:UNUSED_PAD src0_sel:DWORD src1_sel:WORD_1
	v_fma_f16 v70, v23, 0x39e9, -v70
	v_mul_f16_e32 v77, 0xb836, v37
	v_fma_f16 v79, v32, 0x2de8, -v79
	v_add_f16_e32 v67, v82, v67
	v_fmac_f16_e32 v69, 0x39e9, v36
	v_add_f16_e32 v68, v71, v68
	v_fmamk_f16 v71, v34, 0xb8d2, v78
	v_mul_f16_e32 v81, 0xb1e1, v47
	v_fma_f16 v73, v35, 0x2de8, -v73
	v_add_f16_sdwa v70, v70, v4 dst_sel:DWORD dst_unused:UNUSED_PAD src0_sel:DWORD src1_sel:WORD_1
	v_fmamk_f16 v83, v30, 0xbacd, v77
	v_add_f16_e32 v66, v79, v66
	v_add_f16_e32 v67, v69, v67
	v_fmac_f16_e32 v80, 0x3b76, v45
	v_add_f16_e32 v68, v71, v68
	v_fmamk_f16 v69, v33, 0xbbdd, v81
	v_mul_f16_e32 v71, 0x3836, v43
	v_fma_f16 v77, v30, 0xbacd, -v77
	v_add_f16_e32 v70, v73, v70
	v_fma_f16 v73, v34, 0xb8d2, -v78
	v_add_f16_e32 v67, v80, v67
	v_fmac_f16_e32 v74, 0x2de8, v22
	v_add_f16_e32 v68, v69, v68
	v_fmamk_f16 v69, v26, 0xbacd, v71
	v_mul_f16_e32 v79, 0x3bb2, v42
	v_add_f16_e32 v66, v77, v66
	v_mul_f16_e32 v77, 0xb964, v48
	v_add_f16_e32 v70, v73, v70
	v_fma_f16 v73, v33, 0xbbdd, -v81
	v_add_f16_e32 v67, v74, v67
	v_add_f16_e32 v68, v69, v68
	v_fmamk_f16 v69, v31, 0xb461, v79
	v_mul_f16_e32 v74, 0x3b29, v38
	v_fma_f16 v80, v24, 0x39e9, -v77
	v_mul_f16_e32 v82, 0xbbf7, v52
	v_fmac_f16_e32 v76, 0xbacd, v21
	v_fmac_f16_e32 v77, 0x39e9, v24
	v_add_f16_e32 v70, v73, v70
	v_fma_f16 v71, v26, 0xbacd, -v71
	v_add_f16_e32 v64, v83, v64
	v_add_f16_e32 v68, v69, v68
	v_fmamk_f16 v69, v32, 0x3722, v74
	v_add_f16_e32 v80, v80, v4
	v_fma_f16 v83, v28, 0x2de8, -v82
	v_add_f16_e32 v67, v76, v67
	v_mul_f16_e32 v76, 0xba62, v51
	v_fmac_f16_e32 v82, 0x2de8, v28
	v_add_f16_e32 v77, v77, v4
	v_add_f16_e32 v70, v71, v70
	v_fma_f16 v71, v31, 0xb461, -v79
	v_add_f16_e32 v68, v69, v68
	v_mul_f16_e32 v69, 0x35c8, v37
	v_add_f16_e32 v80, v83, v80
	v_fma_f16 v83, v27, 0xb8d2, -v76
	v_mul_f16_e32 v84, 0xb1e1, v49
	v_add_f16_e32 v77, v82, v77
	v_fmac_f16_e32 v76, 0xb8d2, v27
	v_add_f16_e32 v70, v71, v70
	v_fma_f16 v71, v32, 0x3722, -v74
	v_fmamk_f16 v85, v30, 0x3b76, v69
	v_add_f16_e32 v80, v83, v80
	v_fma_f16 v83, v25, 0xbbdd, -v84
	v_mul_f16_e32 v86, 0x3836, v46
	v_add_f16_e32 v76, v76, v77
	v_fmac_f16_e32 v84, 0xbbdd, v25
	v_add_f16_e32 v70, v71, v70
	v_fma_f16 v69, v30, 0x3b76, -v69
	v_mul_f16_e32 v44, 0xb5c8, v44
	v_add_f16_e32 v78, v83, v80
	v_fma_f16 v80, v36, 0xbacd, -v86
	v_mul_f16_e32 v83, 0x3bb2, v54
	v_add_f16_e32 v76, v84, v76
	v_fmac_f16_e32 v86, 0xbacd, v36
	v_add_f16_e32 v69, v69, v70
	v_fmamk_f16 v70, v23, 0x3b76, v44
	v_mul_f16_e32 v53, 0xb964, v53
	v_fma_f16 v23, v23, 0x3b76, -v44
	v_add_f16_e32 v78, v80, v78
	v_fma_f16 v80, v45, 0xb461, -v83
	v_mul_f16_e32 v73, 0x3b29, v41
	v_add_f16_e32 v71, v86, v76
	v_fmac_f16_e32 v83, 0xb461, v45
	v_add_f16_sdwa v70, v70, v4 dst_sel:DWORD dst_unused:UNUSED_PAD src0_sel:DWORD src1_sel:WORD_1
	v_fmamk_f16 v76, v35, 0x39e9, v53
	v_mul_f16_e32 v50, 0xbb29, v50
	v_fma_f16 v35, v35, 0x39e9, -v53
	v_add_f16_sdwa v23, v23, v4 dst_sel:DWORD dst_unused:UNUSED_PAD src0_sel:DWORD src1_sel:WORD_1
	v_fma_f16 v79, v22, 0x3722, -v73
	v_add_f16_e32 v71, v83, v71
	v_fmac_f16_e32 v73, 0x3722, v22
	v_mul_f16_e32 v48, 0xb5c8, v48
	v_add_f16_e32 v70, v76, v70
	v_fmamk_f16 v76, v34, 0x3722, v50
	v_mul_f16_e32 v47, 0xbbf7, v47
	v_fma_f16 v34, v34, 0x3722, -v50
	v_add_f16_e32 v23, v35, v23
	v_add_f16_sdwa v35, v61, v8 dst_sel:DWORD dst_unused:UNUSED_PAD src0_sel:DWORD src1_sel:WORD_1
	v_add_f16_e32 v8, v63, v8
	v_add_f16_e32 v71, v73, v71
	v_fma_f16 v73, v24, 0x3b76, -v48
	v_add_f16_e32 v70, v76, v70
	v_fmamk_f16 v76, v33, 0x2de8, v47
	v_mul_f16_e32 v43, 0xbbb2, v43
	v_fma_f16 v33, v33, 0x2de8, -v47
	v_add_f16_e32 v23, v34, v23
	v_fmac_f16_e32 v48, 0x3b76, v24
	v_add_f16_sdwa v24, v35, v9 dst_sel:DWORD dst_unused:UNUSED_PAD src0_sel:DWORD src1_sel:WORD_1
	v_add_f16_e32 v8, v8, v9
	v_add_f16_e32 v70, v76, v70
	v_fmamk_f16 v76, v26, 0xb461, v43
	v_mul_f16_e32 v42, 0xba62, v42
	v_fma_f16 v26, v26, 0xb461, -v43
	v_add_f16_e32 v9, v33, v23
	v_add_f16_sdwa v23, v24, v6 dst_sel:DWORD dst_unused:UNUSED_PAD src0_sel:DWORD src1_sel:WORD_1
	v_add_f16_e32 v6, v8, v6
	v_add_f16_e32 v70, v76, v70
	v_fmamk_f16 v76, v31, 0xb8d2, v42
	v_fma_f16 v31, v31, 0xb8d2, -v42
	v_add_f16_e32 v8, v26, v9
	v_add_f16_sdwa v9, v23, v7 dst_sel:DWORD dst_unused:UNUSED_PAD src0_sel:DWORD src1_sel:WORD_1
	v_add_f16_e32 v6, v6, v7
	v_add_f16_e32 v78, v80, v78
	v_mul_f16_e32 v77, 0x35c8, v29
	v_add_f16_e32 v7, v31, v8
	v_add_f16_sdwa v8, v9, v2 dst_sel:DWORD dst_unused:UNUSED_PAD src0_sel:DWORD src1_sel:WORD_1
	v_add_f16_e32 v2, v6, v2
	v_add_f16_e32 v74, v79, v78
	v_fma_f16 v78, v21, 0x3b76, -v77
	v_mul_f16_e32 v52, 0xb964, v52
	v_add_f16_sdwa v6, v8, v3 dst_sel:DWORD dst_unused:UNUSED_PAD src0_sel:DWORD src1_sel:WORD_1
	v_add_f16_e32 v8, v2, v3
	v_mad_u64_u32 v[2:3], null, s0, v16, 0
	v_add_f16_e32 v74, v78, v74
	v_add_f16_e32 v73, v73, v4
	v_fma_f16 v78, v28, 0x39e9, -v52
	v_mul_f16_e32 v51, 0xbb29, v51
	v_fmac_f16_e32 v52, 0x39e9, v28
	v_add_f16_e32 v4, v48, v4
	v_add_f16_sdwa v6, v6, v0 dst_sel:DWORD dst_unused:UNUSED_PAD src0_sel:DWORD src1_sel:WORD_1
	v_add_f16_e32 v8, v8, v0
	v_mov_b32_e32 v0, v3
	v_add_f16_e32 v73, v78, v73
	v_fma_f16 v78, v27, 0x3722, -v51
	v_mul_f16_e32 v49, 0xbbf7, v49
	v_fmac_f16_e32 v51, 0x3722, v27
	v_add_f16_e32 v4, v52, v4
	v_add_f16_sdwa v3, v6, v1 dst_sel:DWORD dst_unused:UNUSED_PAD src0_sel:DWORD src1_sel:WORD_1
	v_add_f16_e32 v6, v8, v1
	v_mad_u64_u32 v[0:1], null, s1, v16, v[0:1]
	v_add_f16_e32 v73, v78, v73
	v_fma_f16 v78, v25, 0x2de8, -v49
	v_mul_f16_e32 v46, 0xbbb2, v46
	v_mul_f16_e32 v38, 0xb836, v38
	v_fmac_f16_e32 v49, 0x2de8, v25
	v_add_f16_e32 v4, v51, v4
	v_add_f16_sdwa v1, v3, v18 dst_sel:WORD_1 dst_unused:UNUSED_PAD src0_sel:DWORD src1_sel:WORD_1
	v_add_f16_e32 v3, v6, v18
	v_mul_u32_u24_e32 v6, 17, v17
	v_add_f16_e32 v73, v78, v73
	v_fma_f16 v78, v36, 0xb461, -v46
	v_mul_f16_e32 v54, 0xba62, v54
	v_add_f16_e32 v70, v76, v70
	v_fmamk_f16 v76, v32, 0xbacd, v38
	v_mul_f16_e32 v37, 0xb1e1, v37
	v_fma_f16 v32, v32, 0xbacd, -v38
	v_fmac_f16_e32 v46, 0xb461, v36
	v_add_f16_e32 v4, v49, v4
	v_or_b32_sdwa v23, v1, v3 dst_sel:DWORD dst_unused:UNUSED_PAD src0_sel:DWORD src1_sel:WORD_0
	v_mov_b32_e32 v3, v0
	v_mul_lo_u32 v0, v6, s6
	s_lshl_b64 s[0:1], s[10:11], 2
	v_add_f16_e32 v73, v78, v73
	v_fma_f16 v78, v45, 0xb8d2, -v54
	v_mul_f16_e32 v41, 0xb836, v41
	v_add_f16_e32 v70, v76, v70
	v_fmamk_f16 v76, v30, 0xbbdd, v37
	v_fma_f16 v30, v30, 0xbbdd, -v37
	v_fmac_f16_e32 v54, 0xb8d2, v45
	v_add_f16_e32 v4, v46, v4
	v_add_f16_e32 v7, v32, v7
	s_add_u32 s4, s4, s0
	v_mov_b32_e32 v1, 0
	s_addc_u32 s5, s5, s1
	s_lshl_b64 s[0:1], s[2:3], 2
	v_lshlrev_b64 v[2:3], 2, v[2:3]
	s_add_u32 s2, s4, s0
	s_addc_u32 s3, s5, s1
	s_lshl_b64 s[0:1], s[8:9], 2
	v_fma_f16 v44, v22, 0xbacd, -v41
	v_mul_f16_e32 v29, 0xb1e1, v29
	v_fmac_f16_e32 v41, 0xbacd, v22
	v_add_f16_e32 v4, v54, v4
	v_add_f16_e32 v16, v30, v7
	v_lshlrev_b64 v[6:7], 2, v[0:1]
	v_add_nc_u32_e32 v0, s6, v0
	s_add_u32 s0, s2, s0
	s_addc_u32 s1, s3, s1
	v_add_co_u32 v24, vcc_lo, s0, v2
	v_fma_f16 v34, v21, 0xbbdd, -v29
	v_fmac_f16_e32 v29, 0xbbdd, v21
	v_add_f16_e32 v4, v41, v4
	v_add_co_ci_u32_e32 v25, vcc_lo, s1, v3, vcc_lo
	v_lshlrev_b64 v[2:3], 2, v[0:1]
	v_add_nc_u32_e32 v0, s6, v0
	v_add_f16_e32 v4, v29, v4
	v_fmac_f16_e32 v77, 0x3b76, v21
	v_add_co_u32 v6, vcc_lo, v24, v6
	v_lshlrev_b64 v[8:9], 2, v[0:1]
	v_add_nc_u32_e32 v0, s6, v0
	v_add_co_ci_u32_e32 v7, vcc_lo, v25, v7, vcc_lo
	v_add_co_u32 v2, vcc_lo, v24, v2
	v_pack_b32_f16 v4, v4, v16
	v_lshlrev_b64 v[16:17], 2, v[0:1]
	v_add_nc_u32_e32 v0, s6, v0
	v_add_f16_e32 v71, v77, v71
	v_add_co_ci_u32_e32 v3, vcc_lo, v25, v3, vcc_lo
	v_add_co_u32 v8, vcc_lo, v24, v8
	v_add_co_ci_u32_e32 v9, vcc_lo, v25, v9, vcc_lo
	v_lshlrev_b64 v[21:22], 2, v[0:1]
	v_add_nc_u32_e32 v0, s6, v0
	v_add_co_u32 v16, vcc_lo, v24, v16
	v_pack_b32_f16 v26, v71, v69
	v_add_co_ci_u32_e32 v17, vcc_lo, v25, v17, vcc_lo
	v_pack_b32_f16 v27, v67, v66
	global_store_dword v[6:7], v23, off
	global_store_dword v[2:3], v4, off
	;; [unrolled: 1-line block ×4, first 2 shown]
	v_lshlrev_b64 v[2:3], 2, v[0:1]
	v_add_nc_u32_e32 v0, s6, v0
	v_add_co_u32 v6, vcc_lo, v24, v21
	v_add_co_ci_u32_e32 v7, vcc_lo, v25, v22, vcc_lo
	v_lshlrev_b64 v[8:9], 2, v[0:1]
	v_add_nc_u32_e32 v0, s6, v0
	v_add_co_u32 v2, vcc_lo, v24, v2
	v_add_co_ci_u32_e32 v3, vcc_lo, v25, v3, vcc_lo
	v_lshlrev_b64 v[16:17], 2, v[0:1]
	v_add_co_u32 v8, vcc_lo, v24, v8
	v_add_nc_u32_e32 v0, s6, v0
	v_add_co_ci_u32_e32 v9, vcc_lo, v25, v9, vcc_lo
	v_pack_b32_f16 v22, v14, v13
	v_add_co_u32 v13, vcc_lo, v24, v16
	v_pack_b32_f16 v4, v72, v75
	v_add_co_ci_u32_e32 v14, vcc_lo, v25, v17, vcc_lo
	v_lshlrev_b64 v[16:17], 2, v[0:1]
	v_add_nc_u32_e32 v0, s6, v0
	v_pack_b32_f16 v21, v62, v59
	v_pack_b32_f16 v23, v58, v57
	global_store_dword v[6:7], v4, off
	global_store_dword v[2:3], v21, off
	global_store_dword v[8:9], v22, off
	global_store_dword v[13:14], v23, off
	v_lshlrev_b64 v[2:3], 2, v[0:1]
	v_add_nc_u32_e32 v0, s6, v0
	v_add_co_u32 v6, vcc_lo, v24, v16
	v_add_co_ci_u32_e32 v7, vcc_lo, v25, v17, vcc_lo
	v_lshlrev_b64 v[8:9], 2, v[0:1]
	v_add_nc_u32_e32 v0, s6, v0
	v_add_co_u32 v2, vcc_lo, v24, v2
	v_add_co_ci_u32_e32 v3, vcc_lo, v25, v3, vcc_lo
	v_lshlrev_b64 v[13:14], 2, v[0:1]
	v_add_nc_u32_e32 v0, s6, v0
	v_add_co_u32 v8, vcc_lo, v24, v8
	v_pack_b32_f16 v16, v40, v39
	v_add_co_ci_u32_e32 v9, vcc_lo, v25, v9, vcc_lo
	v_pack_b32_f16 v12, v12, v5
	v_lshlrev_b64 v[4:5], 2, v[0:1]
	v_add_nc_u32_e32 v0, s6, v0
	v_pack_b32_f16 v17, v20, v19
	v_add_co_u32 v13, vcc_lo, v24, v13
	v_pack_b32_f16 v19, v56, v55
	v_add_co_ci_u32_e32 v14, vcc_lo, v25, v14, vcc_lo
	global_store_dword v[6:7], v16, off
	global_store_dword v[2:3], v17, off
	;; [unrolled: 1-line block ×4, first 2 shown]
	v_lshlrev_b64 v[2:3], 2, v[0:1]
	v_add_nc_u32_e32 v0, s6, v0
	v_add_f16_e32 v73, v78, v73
	v_add_co_u32 v4, vcc_lo, v24, v4
	v_add_co_ci_u32_e32 v5, vcc_lo, v25, v5, vcc_lo
	v_lshlrev_b64 v[6:7], 2, v[0:1]
	v_add_nc_u32_e32 v0, s6, v0
	v_add_co_u32 v2, vcc_lo, v24, v2
	v_add_f16_e32 v44, v44, v73
	v_add_co_ci_u32_e32 v3, vcc_lo, v25, v3, vcc_lo
	v_lshlrev_b64 v[8:9], 2, v[0:1]
	v_add_nc_u32_e32 v0, s6, v0
	v_add_co_u32 v6, vcc_lo, v24, v6
	v_add_f16_e32 v68, v85, v68
	v_add_co_ci_u32_e32 v7, vcc_lo, v25, v7, vcc_lo
	v_lshlrev_b64 v[0:1], 2, v[0:1]
	v_add_f16_e32 v70, v76, v70
	v_add_f16_e32 v18, v34, v44
	v_add_co_u32 v8, vcc_lo, v24, v8
	v_pack_b32_f16 v10, v11, v10
	v_pack_b32_f16 v11, v60, v15
	v_add_co_ci_u32_e32 v9, vcc_lo, v25, v9, vcc_lo
	v_pack_b32_f16 v12, v65, v64
	v_add_co_u32 v0, vcc_lo, v24, v0
	v_pack_b32_f16 v13, v74, v68
	v_add_co_ci_u32_e32 v1, vcc_lo, v25, v1, vcc_lo
	v_pack_b32_f16 v14, v18, v70
	global_store_dword v[4:5], v10, off
	global_store_dword v[2:3], v11, off
	;; [unrolled: 1-line block ×5, first 2 shown]
.LBB0_8:
	s_endpgm
	.section	.rodata,"a",@progbits
	.p2align	6, 0x0
	.amdhsa_kernel fft_rtc_back_len17_factors_17_wgs_120_tpt_1_half_op_CI_CI_sbrc_z_xy_unaligned_dirReg
		.amdhsa_group_segment_fixed_size 0
		.amdhsa_private_segment_fixed_size 0
		.amdhsa_kernarg_size 104
		.amdhsa_user_sgpr_count 6
		.amdhsa_user_sgpr_private_segment_buffer 1
		.amdhsa_user_sgpr_dispatch_ptr 0
		.amdhsa_user_sgpr_queue_ptr 0
		.amdhsa_user_sgpr_kernarg_segment_ptr 1
		.amdhsa_user_sgpr_dispatch_id 0
		.amdhsa_user_sgpr_flat_scratch_init 0
		.amdhsa_user_sgpr_private_segment_size 0
		.amdhsa_wavefront_size32 1
		.amdhsa_uses_dynamic_stack 0
		.amdhsa_system_sgpr_private_segment_wavefront_offset 0
		.amdhsa_system_sgpr_workgroup_id_x 1
		.amdhsa_system_sgpr_workgroup_id_y 0
		.amdhsa_system_sgpr_workgroup_id_z 0
		.amdhsa_system_sgpr_workgroup_info 0
		.amdhsa_system_vgpr_workitem_id 0
		.amdhsa_next_free_vgpr 87
		.amdhsa_next_free_sgpr 24
		.amdhsa_reserve_vcc 1
		.amdhsa_reserve_flat_scratch 0
		.amdhsa_float_round_mode_32 0
		.amdhsa_float_round_mode_16_64 0
		.amdhsa_float_denorm_mode_32 3
		.amdhsa_float_denorm_mode_16_64 3
		.amdhsa_dx10_clamp 1
		.amdhsa_ieee_mode 1
		.amdhsa_fp16_overflow 0
		.amdhsa_workgroup_processor_mode 1
		.amdhsa_memory_ordered 1
		.amdhsa_forward_progress 0
		.amdhsa_shared_vgpr_count 0
		.amdhsa_exception_fp_ieee_invalid_op 0
		.amdhsa_exception_fp_denorm_src 0
		.amdhsa_exception_fp_ieee_div_zero 0
		.amdhsa_exception_fp_ieee_overflow 0
		.amdhsa_exception_fp_ieee_underflow 0
		.amdhsa_exception_fp_ieee_inexact 0
		.amdhsa_exception_int_div_zero 0
	.end_amdhsa_kernel
	.text
.Lfunc_end0:
	.size	fft_rtc_back_len17_factors_17_wgs_120_tpt_1_half_op_CI_CI_sbrc_z_xy_unaligned_dirReg, .Lfunc_end0-fft_rtc_back_len17_factors_17_wgs_120_tpt_1_half_op_CI_CI_sbrc_z_xy_unaligned_dirReg
                                        ; -- End function
	.section	.AMDGPU.csdata,"",@progbits
; Kernel info:
; codeLenInByte = 9648
; NumSgprs: 26
; NumVgprs: 87
; ScratchSize: 0
; MemoryBound: 0
; FloatMode: 240
; IeeeMode: 1
; LDSByteSize: 0 bytes/workgroup (compile time only)
; SGPRBlocks: 3
; VGPRBlocks: 10
; NumSGPRsForWavesPerEU: 26
; NumVGPRsForWavesPerEU: 87
; Occupancy: 10
; WaveLimiterHint : 1
; COMPUTE_PGM_RSRC2:SCRATCH_EN: 0
; COMPUTE_PGM_RSRC2:USER_SGPR: 6
; COMPUTE_PGM_RSRC2:TRAP_HANDLER: 0
; COMPUTE_PGM_RSRC2:TGID_X_EN: 1
; COMPUTE_PGM_RSRC2:TGID_Y_EN: 0
; COMPUTE_PGM_RSRC2:TGID_Z_EN: 0
; COMPUTE_PGM_RSRC2:TIDIG_COMP_CNT: 0
	.text
	.p2alignl 6, 3214868480
	.fill 48, 4, 3214868480
	.type	__hip_cuid_486d353665425685,@object ; @__hip_cuid_486d353665425685
	.section	.bss,"aw",@nobits
	.globl	__hip_cuid_486d353665425685
__hip_cuid_486d353665425685:
	.byte	0                               ; 0x0
	.size	__hip_cuid_486d353665425685, 1

	.ident	"AMD clang version 19.0.0git (https://github.com/RadeonOpenCompute/llvm-project roc-6.4.0 25133 c7fe45cf4b819c5991fe208aaa96edf142730f1d)"
	.section	".note.GNU-stack","",@progbits
	.addrsig
	.addrsig_sym __hip_cuid_486d353665425685
	.amdgpu_metadata
---
amdhsa.kernels:
  - .args:
      - .actual_access:  read_only
        .address_space:  global
        .offset:         0
        .size:           8
        .value_kind:     global_buffer
      - .offset:         8
        .size:           8
        .value_kind:     by_value
      - .actual_access:  read_only
        .address_space:  global
        .offset:         16
        .size:           8
        .value_kind:     global_buffer
      - .actual_access:  read_only
        .address_space:  global
        .offset:         24
        .size:           8
        .value_kind:     global_buffer
      - .actual_access:  read_only
        .address_space:  global
        .offset:         32
        .size:           8
        .value_kind:     global_buffer
      - .offset:         40
        .size:           8
        .value_kind:     by_value
      - .actual_access:  read_only
        .address_space:  global
        .offset:         48
        .size:           8
        .value_kind:     global_buffer
      - .actual_access:  read_only
        .address_space:  global
        .offset:         56
        .size:           8
        .value_kind:     global_buffer
      - .offset:         64
        .size:           4
        .value_kind:     by_value
      - .actual_access:  read_only
        .address_space:  global
        .offset:         72
        .size:           8
        .value_kind:     global_buffer
      - .actual_access:  read_only
        .address_space:  global
        .offset:         80
        .size:           8
        .value_kind:     global_buffer
      - .actual_access:  read_only
        .address_space:  global
        .offset:         88
        .size:           8
        .value_kind:     global_buffer
      - .actual_access:  write_only
        .address_space:  global
        .offset:         96
        .size:           8
        .value_kind:     global_buffer
    .group_segment_fixed_size: 0
    .kernarg_segment_align: 8
    .kernarg_segment_size: 104
    .language:       OpenCL C
    .language_version:
      - 2
      - 0
    .max_flat_workgroup_size: 120
    .name:           fft_rtc_back_len17_factors_17_wgs_120_tpt_1_half_op_CI_CI_sbrc_z_xy_unaligned_dirReg
    .private_segment_fixed_size: 0
    .sgpr_count:     26
    .sgpr_spill_count: 0
    .symbol:         fft_rtc_back_len17_factors_17_wgs_120_tpt_1_half_op_CI_CI_sbrc_z_xy_unaligned_dirReg.kd
    .uniform_work_group_size: 1
    .uses_dynamic_stack: false
    .vgpr_count:     87
    .vgpr_spill_count: 0
    .wavefront_size: 32
    .workgroup_processor_mode: 1
amdhsa.target:   amdgcn-amd-amdhsa--gfx1030
amdhsa.version:
  - 1
  - 2
...

	.end_amdgpu_metadata
